;; amdgpu-corpus repo=ROCm/rocFFT kind=compiled arch=gfx950 opt=O3
	.text
	.amdgcn_target "amdgcn-amd-amdhsa--gfx950"
	.amdhsa_code_object_version 6
	.protected	fft_rtc_fwd_len224_factors_7_2_2_2_2_2_wgs_64_tpt_16_halfLds_sp_ip_CI_sbrr_dirReg ; -- Begin function fft_rtc_fwd_len224_factors_7_2_2_2_2_2_wgs_64_tpt_16_halfLds_sp_ip_CI_sbrr_dirReg
	.globl	fft_rtc_fwd_len224_factors_7_2_2_2_2_2_wgs_64_tpt_16_halfLds_sp_ip_CI_sbrr_dirReg
	.p2align	8
	.type	fft_rtc_fwd_len224_factors_7_2_2_2_2_2_wgs_64_tpt_16_halfLds_sp_ip_CI_sbrr_dirReg,@function
fft_rtc_fwd_len224_factors_7_2_2_2_2_2_wgs_64_tpt_16_halfLds_sp_ip_CI_sbrr_dirReg: ; @fft_rtc_fwd_len224_factors_7_2_2_2_2_2_wgs_64_tpt_16_halfLds_sp_ip_CI_sbrr_dirReg
; %bb.0:
	s_load_dwordx2 s[12:13], s[0:1], 0x18
	s_load_dwordx4 s[4:7], s[0:1], 0x0
	s_load_dwordx2 s[10:11], s[0:1], 0x50
	v_lshrrev_b32_e32 v11, 4, v0
	v_lshl_or_b32 v6, s2, 2, v11
	s_waitcnt lgkmcnt(0)
	s_load_dwordx2 s[8:9], s[12:13], 0x0
	v_mov_b32_e32 v4, 0
	v_cmp_lt_u64_e64 s[2:3], s[6:7], 2
	v_mov_b32_e32 v7, v4
	s_and_b64 vcc, exec, s[2:3]
	v_mov_b64_e32 v[2:3], 0
	s_cbranch_vccnz .LBB0_8
; %bb.1:
	s_load_dwordx2 s[2:3], s[0:1], 0x10
	s_add_u32 s14, s12, 8
	s_addc_u32 s15, s13, 0
	s_mov_b64 s[16:17], 1
	v_mov_b64_e32 v[2:3], 0
	s_waitcnt lgkmcnt(0)
	s_add_u32 s18, s2, 8
	s_addc_u32 s19, s3, 0
.LBB0_2:                                ; =>This Inner Loop Header: Depth=1
	s_load_dwordx2 s[20:21], s[18:19], 0x0
                                        ; implicit-def: $vgpr8_vgpr9
	s_waitcnt lgkmcnt(0)
	v_or_b32_e32 v5, s21, v7
	v_cmp_ne_u64_e32 vcc, 0, v[4:5]
	s_and_saveexec_b64 s[2:3], vcc
	s_xor_b64 s[22:23], exec, s[2:3]
	s_cbranch_execz .LBB0_4
; %bb.3:                                ;   in Loop: Header=BB0_2 Depth=1
	v_cvt_f32_u32_e32 v1, s20
	v_cvt_f32_u32_e32 v5, s21
	s_sub_u32 s2, 0, s20
	s_subb_u32 s3, 0, s21
	v_fmac_f32_e32 v1, 0x4f800000, v5
	v_rcp_f32_e32 v1, v1
	s_nop 0
	v_mul_f32_e32 v1, 0x5f7ffffc, v1
	v_mul_f32_e32 v5, 0x2f800000, v1
	v_trunc_f32_e32 v5, v5
	v_fmac_f32_e32 v1, 0xcf800000, v5
	v_cvt_u32_f32_e32 v5, v5
	v_cvt_u32_f32_e32 v1, v1
	v_mul_lo_u32 v8, s2, v5
	v_mul_hi_u32 v10, s2, v1
	v_mul_lo_u32 v9, s3, v1
	v_add_u32_e32 v10, v10, v8
	v_mul_lo_u32 v14, s2, v1
	v_add_u32_e32 v10, v10, v9
	v_mul_hi_u32 v8, v1, v14
	v_mul_hi_u32 v13, v1, v10
	v_mul_lo_u32 v12, v1, v10
	v_mov_b32_e32 v9, v4
	v_lshl_add_u64 v[8:9], v[8:9], 0, v[12:13]
	v_mul_hi_u32 v13, v5, v14
	v_mul_lo_u32 v14, v5, v14
	v_add_co_u32_e32 v8, vcc, v8, v14
	v_mul_hi_u32 v12, v5, v10
	s_nop 0
	v_addc_co_u32_e32 v8, vcc, v9, v13, vcc
	v_mov_b32_e32 v9, v4
	s_nop 0
	v_addc_co_u32_e32 v13, vcc, 0, v12, vcc
	v_mul_lo_u32 v12, v5, v10
	v_lshl_add_u64 v[8:9], v[8:9], 0, v[12:13]
	v_add_co_u32_e32 v1, vcc, v1, v8
	v_mul_lo_u32 v12, s2, v1
	s_nop 0
	v_addc_co_u32_e32 v5, vcc, v5, v9, vcc
	v_mul_lo_u32 v8, s2, v5
	v_mul_hi_u32 v9, s2, v1
	v_add_u32_e32 v8, v9, v8
	v_mul_lo_u32 v9, s3, v1
	v_add_u32_e32 v10, v8, v9
	v_mul_hi_u32 v15, v5, v12
	v_mul_lo_u32 v16, v5, v12
	v_mul_hi_u32 v9, v1, v10
	v_mul_lo_u32 v8, v1, v10
	v_mul_hi_u32 v12, v1, v12
	v_mov_b32_e32 v13, v4
	v_lshl_add_u64 v[8:9], v[12:13], 0, v[8:9]
	v_add_co_u32_e32 v8, vcc, v8, v16
	v_mul_hi_u32 v14, v5, v10
	s_nop 0
	v_addc_co_u32_e32 v8, vcc, v9, v15, vcc
	v_mul_lo_u32 v12, v5, v10
	s_nop 0
	v_addc_co_u32_e32 v13, vcc, 0, v14, vcc
	v_mov_b32_e32 v9, v4
	v_lshl_add_u64 v[8:9], v[8:9], 0, v[12:13]
	v_add_co_u32_e32 v1, vcc, v1, v8
	v_mul_hi_u32 v12, v6, v1
	s_nop 0
	v_addc_co_u32_e32 v5, vcc, v5, v9, vcc
	v_mad_u64_u32 v[8:9], s[2:3], v6, v5, 0
	v_mov_b32_e32 v13, v4
	v_lshl_add_u64 v[8:9], v[12:13], 0, v[8:9]
	v_mad_u64_u32 v[14:15], s[2:3], v7, v1, 0
	v_add_co_u32_e32 v1, vcc, v8, v14
	v_mad_u64_u32 v[12:13], s[2:3], v7, v5, 0
	s_nop 0
	v_addc_co_u32_e32 v8, vcc, v9, v15, vcc
	v_mov_b32_e32 v9, v4
	s_nop 0
	v_addc_co_u32_e32 v13, vcc, 0, v13, vcc
	v_lshl_add_u64 v[8:9], v[8:9], 0, v[12:13]
	v_mul_lo_u32 v1, s21, v8
	v_mul_lo_u32 v5, s20, v9
	v_mad_u64_u32 v[12:13], s[2:3], s20, v8, 0
	v_add3_u32 v1, v13, v5, v1
	v_sub_u32_e32 v5, v7, v1
	v_mov_b32_e32 v10, s21
	v_sub_co_u32_e32 v16, vcc, v6, v12
	v_lshl_add_u64 v[14:15], v[8:9], 0, 1
	s_nop 0
	v_subb_co_u32_e64 v5, s[2:3], v5, v10, vcc
	v_subrev_co_u32_e64 v10, s[2:3], s20, v16
	v_subb_co_u32_e32 v1, vcc, v7, v1, vcc
	s_nop 0
	v_subbrev_co_u32_e64 v5, s[2:3], 0, v5, s[2:3]
	v_cmp_le_u32_e64 s[2:3], s21, v5
	v_cmp_le_u32_e32 vcc, s21, v1
	s_nop 0
	v_cndmask_b32_e64 v12, 0, -1, s[2:3]
	v_cmp_le_u32_e64 s[2:3], s20, v10
	s_nop 1
	v_cndmask_b32_e64 v10, 0, -1, s[2:3]
	v_cmp_eq_u32_e64 s[2:3], s21, v5
	s_nop 1
	v_cndmask_b32_e64 v5, v12, v10, s[2:3]
	v_lshl_add_u64 v[12:13], v[8:9], 0, 2
	v_cmp_ne_u32_e64 s[2:3], 0, v5
	v_cndmask_b32_e64 v10, 0, -1, vcc
	v_cmp_le_u32_e32 vcc, s20, v16
	v_cndmask_b32_e64 v5, v15, v13, s[2:3]
	s_nop 0
	v_cndmask_b32_e64 v13, 0, -1, vcc
	v_cmp_eq_u32_e32 vcc, s21, v1
	s_nop 1
	v_cndmask_b32_e32 v1, v10, v13, vcc
	v_cmp_ne_u32_e32 vcc, 0, v1
	v_cndmask_b32_e64 v1, v14, v12, s[2:3]
	s_nop 0
	v_cndmask_b32_e32 v9, v9, v5, vcc
	v_cndmask_b32_e32 v8, v8, v1, vcc
.LBB0_4:                                ;   in Loop: Header=BB0_2 Depth=1
	s_andn2_saveexec_b64 s[2:3], s[22:23]
	s_cbranch_execz .LBB0_6
; %bb.5:                                ;   in Loop: Header=BB0_2 Depth=1
	v_cvt_f32_u32_e32 v1, s20
	s_sub_i32 s22, 0, s20
	v_rcp_iflag_f32_e32 v1, v1
	s_nop 0
	v_mul_f32_e32 v1, 0x4f7ffffe, v1
	v_cvt_u32_f32_e32 v1, v1
	v_mul_lo_u32 v5, s22, v1
	v_mul_hi_u32 v5, v1, v5
	v_add_u32_e32 v1, v1, v5
	v_mul_hi_u32 v1, v6, v1
	v_mul_lo_u32 v5, v1, s20
	v_sub_u32_e32 v5, v6, v5
	v_add_u32_e32 v8, 1, v1
	v_subrev_u32_e32 v9, s20, v5
	v_cmp_le_u32_e32 vcc, s20, v5
	s_nop 1
	v_cndmask_b32_e32 v5, v5, v9, vcc
	v_cndmask_b32_e32 v1, v1, v8, vcc
	v_add_u32_e32 v8, 1, v1
	v_cmp_le_u32_e32 vcc, s20, v5
	v_mov_b32_e32 v9, v4
	s_nop 0
	v_cndmask_b32_e32 v8, v1, v8, vcc
.LBB0_6:                                ;   in Loop: Header=BB0_2 Depth=1
	s_or_b64 exec, exec, s[2:3]
	v_mad_u64_u32 v[12:13], s[2:3], v8, s20, 0
	s_load_dwordx2 s[2:3], s[14:15], 0x0
	v_mul_lo_u32 v1, v9, s20
	v_mul_lo_u32 v5, v8, s21
	v_add3_u32 v1, v13, v5, v1
	v_sub_co_u32_e32 v5, vcc, v6, v12
	s_add_u32 s16, s16, 1
	s_nop 0
	v_subb_co_u32_e32 v1, vcc, v7, v1, vcc
	s_addc_u32 s17, s17, 0
	s_waitcnt lgkmcnt(0)
	v_mul_lo_u32 v1, s2, v1
	v_mul_lo_u32 v6, s3, v5
	v_mad_u64_u32 v[2:3], s[2:3], s2, v5, v[2:3]
	s_add_u32 s14, s14, 8
	v_add3_u32 v3, v6, v3, v1
	s_addc_u32 s15, s15, 0
	v_mov_b64_e32 v[6:7], s[6:7]
	s_add_u32 s18, s18, 8
	v_cmp_ge_u64_e32 vcc, s[16:17], v[6:7]
	s_addc_u32 s19, s19, 0
	s_cbranch_vccnz .LBB0_9
; %bb.7:                                ;   in Loop: Header=BB0_2 Depth=1
	v_mov_b64_e32 v[6:7], v[8:9]
	s_branch .LBB0_2
.LBB0_8:
	v_mov_b64_e32 v[8:9], v[6:7]
.LBB0_9:
	s_lshl_b64 s[2:3], s[6:7], 3
	s_add_u32 s2, s12, s2
	s_addc_u32 s3, s13, s3
	s_load_dwordx2 s[6:7], s[2:3], 0x0
	s_load_dwordx2 s[12:13], s[0:1], 0x20
	v_and_b32_e32 v0, 15, v0
	v_or_b32_e32 v6, 16, v0
	v_or_b32_e32 v53, 48, v0
	s_waitcnt lgkmcnt(0)
	v_mul_lo_u32 v1, s6, v9
	v_mul_lo_u32 v4, s7, v8
	v_mad_u64_u32 v[2:3], s[0:1], s6, v8, v[2:3]
	v_add3_u32 v3, v4, v3, v1
	v_cmp_gt_u64_e32 vcc, s[12:13], v[8:9]
	v_cmp_le_u64_e64 s[0:1], s[12:13], v[8:9]
	v_or_b32_e32 v4, 32, v0
	v_or_b32_e32 v52, 64, v0
                                        ; implicit-def: $sgpr2_sgpr3
                                        ; implicit-def: $vgpr20
                                        ; implicit-def: $vgpr22
                                        ; implicit-def: $vgpr12
                                        ; implicit-def: $vgpr14
                                        ; implicit-def: $vgpr10
                                        ; implicit-def: $vgpr8
                                        ; implicit-def: $vgpr18_vgpr19
                                        ; implicit-def: $vgpr16_vgpr17
	s_and_saveexec_b64 s[6:7], s[0:1]
	s_xor_b64 s[0:1], exec, s[6:7]
	s_cbranch_execz .LBB0_11
; %bb.10:
	v_mov_b32_e32 v1, 0
	v_or_b32_e32 v20, 16, v0
	v_or_b32_e32 v22, 32, v0
	v_mov_b32_e32 v21, v1
	v_mov_b32_e32 v23, v1
	v_or_b32_e32 v12, 48, v0
	v_or_b32_e32 v14, 64, v0
	;; [unrolled: 1-line block ×4, first 2 shown]
	s_mov_b64 s[2:3], 0
	v_mov_b64_e32 v[18:19], v[20:21]
	v_mov_b64_e32 v[16:17], v[22:23]
.LBB0_11:
	s_or_saveexec_b64 s[0:1], s[0:1]
	v_mov_b64_e32 v[40:41], s[2:3]
	v_lshl_add_u64 v[2:3], v[2:3], 3, s[10:11]
	v_mov_b64_e32 v[30:31], s[2:3]
	v_mov_b64_e32 v[48:49], s[2:3]
	v_mov_b64_e32 v[28:29], s[2:3]
	v_mov_b64_e32 v[32:33], s[2:3]
	v_mov_b64_e32 v[26:27], s[2:3]
	v_mov_b64_e32 v[34:35], s[2:3]
	v_mov_b64_e32 v[24:25], s[2:3]
                                        ; implicit-def: $vgpr50
                                        ; implicit-def: $vgpr36
                                        ; implicit-def: $vgpr38
                                        ; implicit-def: $vgpr42
                                        ; implicit-def: $vgpr44
                                        ; implicit-def: $vgpr46
	s_xor_b64 exec, exec, s[0:1]
	s_cbranch_execz .LBB0_13
; %bb.12:
	v_mad_u64_u32 v[8:9], s[2:3], s8, v0, 0
	v_mov_b32_e32 v10, v9
	v_mad_u64_u32 v[12:13], s[2:3], s9, v0, v[10:11]
	v_mov_b32_e32 v9, v12
	v_lshl_add_u64 v[12:13], v[8:9], 3, v[2:3]
	v_mad_u64_u32 v[8:9], s[2:3], s8, v4, 0
	v_mov_b32_e32 v10, v9
	v_mad_u64_u32 v[14:15], s[2:3], s9, v4, v[10:11]
	v_mov_b32_e32 v9, v14
	v_lshl_add_u64 v[14:15], v[8:9], 3, v[2:3]
	;; [unrolled: 5-line block ×3, first 2 shown]
	v_or_b32_e32 v8, 0x60, v0
	v_mad_u64_u32 v[18:19], s[2:3], s8, v8, 0
	v_mov_b32_e32 v10, v19
	v_mad_u64_u32 v[20:21], s[2:3], s9, v8, v[10:11]
	v_mov_b32_e32 v19, v20
	v_or_b32_e32 v1, 0x80, v0
	v_lshl_add_u64 v[18:19], v[18:19], 3, v[2:3]
	global_load_dwordx2 v[28:29], v[12:13], off
	global_load_dwordx2 v[40:41], v[14:15], off
	;; [unrolled: 1-line block ×4, first 2 shown]
	v_mad_u64_u32 v[12:13], s[2:3], s8, v1, 0
	v_mov_b32_e32 v10, v13
	v_mad_u64_u32 v[14:15], s[2:3], s9, v1, v[10:11]
	v_or_b32_e32 v1, 0xa0, v0
	v_mov_b32_e32 v13, v14
	v_mad_u64_u32 v[14:15], s[2:3], s8, v1, 0
	v_mov_b32_e32 v10, v15
	v_mad_u64_u32 v[16:17], s[2:3], s9, v1, v[10:11]
	v_or_b32_e32 v1, 0xc0, v0
	v_mov_b32_e32 v15, v16
	v_mad_u64_u32 v[16:17], s[2:3], s8, v1, 0
	v_mov_b32_e32 v10, v17
	v_mad_u64_u32 v[18:19], s[2:3], s9, v1, v[10:11]
	;; [unrolled: 2-line block ×4, first 2 shown]
	v_lshl_add_u64 v[12:13], v[12:13], 3, v[2:3]
	v_mov_b32_e32 v19, v20
	v_lshl_add_u64 v[14:15], v[14:15], 3, v[2:3]
	v_lshl_add_u64 v[16:17], v[16:17], 3, v[2:3]
	;; [unrolled: 1-line block ×3, first 2 shown]
	global_load_dwordx2 v[48:49], v[12:13], off
	global_load_dwordx2 v[44:45], v[14:15], off
	;; [unrolled: 1-line block ×4, first 2 shown]
	v_mad_u64_u32 v[12:13], s[2:3], s8, v53, 0
	v_mov_b32_e32 v10, v13
	v_mad_u64_u32 v[14:15], s[2:3], s9, v53, v[10:11]
	v_or_b32_e32 v10, 0x50, v0
	v_mov_b32_e32 v13, v14
	v_mad_u64_u32 v[14:15], s[2:3], s8, v10, 0
	v_mov_b32_e32 v16, v15
	v_mad_u64_u32 v[16:17], s[2:3], s9, v10, v[16:17]
	v_or_b32_e32 v1, 0x70, v0
	v_mov_b32_e32 v15, v16
	;; [unrolled: 5-line block ×3, first 2 shown]
	v_mad_u64_u32 v[18:19], s[2:3], s8, v1, 0
	v_mov_b32_e32 v20, v19
	v_mad_u64_u32 v[20:21], s[2:3], s9, v1, v[20:21]
	v_lshl_add_u64 v[12:13], v[12:13], 3, v[2:3]
	v_mov_b32_e32 v19, v20
	v_or_b32_e32 v1, 0xb0, v0
	v_lshl_add_u64 v[14:15], v[14:15], 3, v[2:3]
	v_lshl_add_u64 v[16:17], v[16:17], 3, v[2:3]
	;; [unrolled: 1-line block ×3, first 2 shown]
	global_load_dwordx2 v[32:33], v[12:13], off
	global_load_dwordx2 v[26:27], v[14:15], off
	;; [unrolled: 1-line block ×4, first 2 shown]
	v_mad_u64_u32 v[12:13], s[2:3], s8, v1, 0
	v_mov_b32_e32 v14, v13
	v_mad_u64_u32 v[14:15], s[2:3], s9, v1, v[14:15]
	v_or_b32_e32 v1, 0xd0, v0
	v_mov_b32_e32 v13, v14
	v_mad_u64_u32 v[14:15], s[2:3], s8, v1, 0
	v_mov_b32_e32 v16, v15
	v_mad_u64_u32 v[16:17], s[2:3], s9, v1, v[16:17]
	v_lshl_add_u64 v[12:13], v[12:13], 3, v[2:3]
	v_mov_b32_e32 v15, v16
	v_lshl_add_u64 v[14:15], v[14:15], 3, v[2:3]
	global_load_dwordx2 v[38:39], v[12:13], off
	global_load_dwordx2 v[42:43], v[14:15], off
	v_mov_b32_e32 v1, 0
	v_mov_b32_e32 v5, v1
	;; [unrolled: 1-line block ×3, first 2 shown]
	v_mov_b64_e32 v[16:17], v[4:5]
	v_mov_b64_e32 v[18:19], v[6:7]
	v_mov_b32_e32 v14, v52
	v_mov_b32_e32 v12, v53
	;; [unrolled: 1-line block ×4, first 2 shown]
.LBB0_13:
	s_or_b64 exec, exec, s[0:1]
	s_waitcnt vmcnt(7)
	v_add_f32_e32 v5, v50, v40
	v_add_f32_e32 v56, v44, v30
	;; [unrolled: 1-line block ×4, first 2 shown]
	s_mov_b32 s0, 0x3d64c772
	v_sub_f32_e32 v15, v5, v54
	v_pk_add_f32 v[58:59], v[54:55], v[56:57] neg_lo:[0,1] neg_hi:[0,1]
	v_pk_add_f32 v[54:55], v[54:55], v[56:57] op_sel_hi:[0,1]
	s_mov_b32 s1, 0x3f955555
	v_sub_f32_e32 v9, v31, v45
	v_sub_f32_e32 v13, v49, v47
	;; [unrolled: 1-line block ×3, first 2 shown]
	v_mov_b32_e32 v54, v58
	v_pk_mul_f32 v[58:59], v[58:59], s[0:1]
	s_mov_b32 s2, 0x3f3bfb3b
	v_mul_f32_e32 v60, 0x3f4a47b2, v15
	v_add_f32_e32 v61, v55, v28
	v_sub_f32_e32 v7, v41, v51
	v_sub_f32_e32 v23, v13, v9
	v_fma_f32 v5, v67, s2, -v58
	v_pk_fma_f32 v[62:63], v[54:55], s[0:1], v[60:61] neg_lo:[1,0,0] neg_hi:[1,0,0]
	v_add_f32_e32 v21, v9, v13
	v_sub_f32_e32 v66, v9, v7
	v_mul_f32_e32 v56, 0xbf08b237, v23
	s_mov_b32 s3, 0x3f5ff5aa
	v_add_f32_e32 v28, v5, v63
	v_mul_u32_u24_e32 v5, 0xe0, v11
	v_add_f32_e32 v21, v7, v21
	v_fma_f32 v58, v66, s3, -v56
	v_lshlrev_b32_e32 v9, 2, v5
	v_fmac_f32_e32 v58, 0x3ee1c552, v21
	v_add_u32_e32 v11, 0, v9
	v_pk_add_f32 v[64:65], v[28:29], v[58:59] neg_lo:[0,1] neg_hi:[0,1]
	v_pk_add_f32 v[58:59], v[28:29], v[58:59]
	v_mad_u32_u24 v23, v0, 28, v11
	v_sub_f32_e32 v5, v7, v13
	v_mul_f32_e32 v7, 0x3f5ff5aa, v66
	s_mov_b32 s7, 0xbeae86e6
	v_pk_fma_f32 v[54:55], v[54:55], s[0:1], v[60:61]
	s_mov_b32 s6, 0xbf3bfb3b
	ds_write2_b32 v23, v64, v58 offset0:3 offset1:4
	v_fma_f32 v57, v5, s7, -v7
	v_fmac_f32_e32 v56, 0x3eae86e6, v5
	v_mul_f32_e32 v28, 0x3ee1c552, v21
	v_mov_b32_e32 v55, v63
	v_mov_b32_e32 v58, v63
	v_fma_f32 v59, v67, s6, -v60
	v_pk_add_f32 v[54:55], v[54:55], v[58:59]
	v_pk_add_f32 v[56:57], v[56:57], v[28:29] op_sel_hi:[1,0]
	s_waitcnt vmcnt(0)
	v_add_f32_e32 v7, v42, v32
	v_pk_add_f32 v[58:59], v[54:55], v[56:57]
	v_pk_add_f32 v[54:55], v[54:55], v[56:57] neg_lo:[0,1] neg_hi:[0,1]
	ds_write2_b32 v23, v55, v54 offset0:5 offset1:6
	v_add_f32_e32 v54, v38, v26
	v_add_f32_e32 v28, v36, v34
	;; [unrolled: 1-line block ×3, first 2 shown]
	v_sub_f32_e32 v15, v27, v39
	ds_write2_b32 v23, v58, v59 offset0:1 offset1:2
	v_sub_f32_e32 v21, v35, v37
	v_sub_f32_e32 v58, v7, v28
	;; [unrolled: 1-line block ×3, first 2 shown]
	v_pk_add_f32 v[56:57], v[28:29], v[54:55] neg_lo:[0,1] neg_hi:[0,1]
	v_pk_add_f32 v[54:55], v[28:29], v[54:55] op_sel_hi:[0,1]
	v_sub_f32_e32 v13, v33, v43
	v_add_f32_e32 v5, v15, v21
	v_sub_f32_e32 v28, v21, v15
	v_mov_b32_e32 v54, v56
	v_pk_mul_f32 v[56:57], v[56:57], s[0:1]
	v_sub_f32_e32 v15, v15, v13
	v_add_f32_e32 v66, v13, v5
	v_fma_f32 v5, v7, s2, -v56
	v_mul_f32_e32 v56, 0xbf08b237, v28
	v_mul_f32_e32 v58, 0x3f4a47b2, v58
	v_add_f32_e32 v59, v55, v24
	ds_write_b32 v23, v61
	v_fma_f32 v28, v15, s3, -v56
	v_pk_fma_f32 v[60:61], v[54:55], s[0:1], v[58:59] neg_lo:[1,0,0] neg_hi:[1,0,0]
	v_fmac_f32_e32 v28, 0x3ee1c552, v66
	v_add_f32_e32 v24, v5, v61
	v_pk_add_f32 v[62:63], v[24:25], v[28:29] neg_lo:[0,1] neg_hi:[0,1]
	v_pk_add_f32 v[64:65], v[24:25], v[28:29]
	v_mad_i32_i24 v63, v20, 28, v11
	ds_write2_b32 v63, v62, v64 offset0:3 offset1:4
	v_sub_f32_e32 v62, v40, v50
	v_sub_f32_e32 v64, v48, v46
	;; [unrolled: 1-line block ×3, first 2 shown]
	v_add_f32_e32 v51, v51, v41
	v_pk_fma_f32 v[40:41], v[54:55], s[0:1], v[58:59]
	v_add_f32_e32 v28, v5, v64
	v_sub_f32_e32 v13, v13, v21
	v_sub_f32_e32 v21, v64, v5
	;; [unrolled: 1-line block ×3, first 2 shown]
	v_mul_f32_e32 v5, 0x3f5ff5aa, v15
	v_add_f32_e32 v24, v47, v49
	v_mov_b32_e32 v41, v61
	v_mov_b32_e32 v46, v61
	v_fma_f32 v47, v7, s6, -v58
	v_add_f32_e32 v67, v62, v28
	v_fma_f32 v57, v13, s7, -v5
	v_fmac_f32_e32 v56, 0x3eae86e6, v13
	v_mul_f32_e32 v28, 0x3ee1c552, v66
	v_pk_add_f32 v[40:41], v[40:41], v[46:47]
	v_pk_add_f32 v[46:47], v[56:57], v[28:29] op_sel_hi:[1,0]
	v_add_f32_e32 v30, v45, v31
	v_pk_add_f32 v[54:55], v[40:41], v[46:47]
	v_pk_add_f32 v[40:41], v[40:41], v[46:47] neg_lo:[0,1] neg_hi:[0,1]
	v_add_f32_e32 v31, v51, v30
	v_sub_f32_e32 v7, v51, v24
	ds_write2_b32 v63, v54, v55 offset0:1 offset1:2
	ds_write2_b32 v63, v41, v40 offset0:5 offset1:6
	v_pk_add_f32 v[40:41], v[24:25], v[30:31] neg_lo:[0,1] neg_hi:[0,1]
	v_pk_add_f32 v[54:55], v[24:25], v[30:31] op_sel_hi:[0,1]
	v_mul_f32_e32 v48, 0x3f4a47b2, v7
	v_mul_f32_e32 v50, 0xbf08b237, v21
	v_sub_f32_e32 v51, v30, v51
	v_mov_b32_e32 v54, v40
	v_add_f32_e32 v49, v55, v29
	v_pk_mul_f32 v[30:31], v[40:41], s[0:1]
	v_fma_f32 v28, v65, s3, -v50
	v_pk_fma_f32 v[40:41], v[54:55], s[0:1], v[48:49] neg_lo:[1,0,0] neg_hi:[1,0,0]
	v_fma_f32 v15, v51, s2, -v30
	v_fmac_f32_e32 v28, 0x3ee1c552, v67
	v_add_f32_e32 v24, v15, v41
	v_pk_add_f32 v[30:31], v[24:25], v[28:29]
	v_pk_add_f32 v[56:57], v[24:25], v[28:29] neg_lo:[0,1] neg_hi:[0,1]
	v_pk_fma_f32 v[54:55], v[54:55], s[0:1], v[48:49]
	v_sub_f32_e32 v15, v62, v64
	v_mul_f32_e32 v24, 0x3f5ff5aa, v65
	v_lshlrev_b32_e32 v13, 2, v0
	v_mov_b32_e32 v55, v41
	v_mov_b32_e32 v40, v41
	v_fma_f32 v41, v51, s6, -v48
	v_fma_f32 v51, v15, s7, -v24
	v_fmac_f32_e32 v50, 0x3eae86e6, v15
	v_mul_f32_e32 v24, 0x3ee1c552, v67
	v_add_u32_e32 v5, v11, v13
	s_movk_i32 s10, 0xffe8
	v_lshl_add_u32 v31, v12, 2, v11
	v_pk_add_f32 v[40:41], v[54:55], v[40:41]
	v_pk_add_f32 v[50:51], v[50:51], v[24:25] op_sel_hi:[1,0]
	ds_write_b32 v63, v59
	s_waitcnt lgkmcnt(0)
	; wave barrier
	s_waitcnt lgkmcnt(0)
	ds_read_b32 v66, v5
	v_mad_i32_i24 v7, v0, s10, v23
	v_mad_i32_i24 v44, v20, s10, v63
	v_lshl_add_u32 v45, v22, 2, v11
	v_lshl_add_u32 v46, v14, 2, v11
	;; [unrolled: 1-line block ×4, first 2 shown]
	ds_read_b32 v57, v31
	ds_read_b32 v68, v46
	;; [unrolled: 1-line block ×6, first 2 shown]
	ds_read_b32 v73, v7 offset:832
	ds_read2_b32 v[58:59], v7 offset0:112 offset1:128
	ds_read2_b32 v[60:61], v7 offset0:144 offset1:160
	;; [unrolled: 1-line block ×3, first 2 shown]
	s_waitcnt lgkmcnt(0)
	; wave barrier
	s_waitcnt lgkmcnt(0)
	ds_write2_b32 v23, v30, v56 offset0:3 offset1:4
	v_pk_add_f32 v[54:55], v[50:51], v[40:41]
	v_add_f32_e32 v15, v43, v33
	v_sub_f32_e32 v30, v32, v42
	v_sub_f32_e32 v34, v34, v36
	v_pk_add_f32 v[32:33], v[40:41], v[50:51] neg_lo:[0,1] neg_hi:[0,1]
	v_sub_f32_e32 v26, v26, v38
	v_add_f32_e32 v36, v39, v27
	ds_write2_b32 v23, v55, v54 offset0:5 offset1:6
	v_add_f32_e32 v24, v37, v35
	ds_write_b32 v23, v49
	ds_write2_b32 v23, v32, v33 offset0:1 offset1:2
	v_add_f32_e32 v23, v26, v34
	v_sub_f32_e32 v32, v34, v26
	v_sub_f32_e32 v26, v26, v30
	v_add_f32_e32 v37, v15, v36
	v_sub_f32_e32 v35, v15, v24
	v_sub_f32_e32 v34, v30, v34
	v_add_f32_e32 v23, v30, v23
	v_mul_f32_e32 v32, 0xbf08b237, v32
	v_mul_f32_e32 v30, 0x3f5ff5aa, v26
	v_sub_f32_e32 v15, v36, v15
	v_pk_add_f32 v[38:39], v[24:25], v[36:37] neg_lo:[0,1] neg_hi:[0,1]
	v_pk_add_f32 v[36:37], v[24:25], v[36:37] op_sel_hi:[0,1]
	v_fma_f32 v33, v34, s7, -v30
	v_fma_f32 v26, v26, s3, -v32
	v_fmac_f32_e32 v32, 0x3eae86e6, v34
	v_mul_f32_e32 v34, 0x3f4a47b2, v35
	v_mov_b32_e32 v36, v38
	v_add_f32_e32 v35, v37, v25
	v_pk_mul_f32 v[38:39], v[38:39], s[0:1]
	v_pk_fma_f32 v[40:41], v[36:37], s[0:1], v[34:35]
	v_pk_fma_f32 v[36:37], v[36:37], s[0:1], v[34:35] neg_lo:[1,0,0] neg_hi:[1,0,0]
	v_mul_f32_e32 v24, 0x3ee1c552, v23
	v_fmac_f32_e32 v26, 0x3ee1c552, v23
	v_mov_b32_e32 v41, v37
	v_fma_f32 v23, v15, s2, -v38
	v_fma_f32 v39, v15, s6, -v34
	v_mov_b32_e32 v38, v37
	v_add_f32_e32 v30, v23, v37
	v_pk_add_f32 v[36:37], v[40:41], v[38:39]
	v_pk_add_f32 v[24:25], v[32:33], v[24:25] op_sel_hi:[1,0]
	v_mov_b32_e32 v38, 37
	v_pk_add_f32 v[32:33], v[36:37], v[24:25] neg_lo:[0,1] neg_hi:[0,1]
	v_pk_add_f32 v[24:25], v[24:25], v[36:37]
	ds_write_b32 v63, v35
	ds_write2_b32 v63, v32, v33 offset0:1 offset1:2
	v_pk_add_f32 v[32:33], v[30:31], v[26:27]
	v_pk_add_f32 v[26:27], v[30:31], v[26:27] neg_lo:[0,1] neg_hi:[0,1]
	ds_write2_b32 v63, v25, v24 offset0:5 offset1:6
	v_mul_lo_u16_sdwa v25, v20, v38 dst_sel:DWORD dst_unused:UNUSED_PAD src0_sel:BYTE_0 src1_sel:DWORD
	ds_write2_b32 v63, v32, v26 offset0:3 offset1:4
	v_sub_u16_sdwa v26, v20, v25 dst_sel:DWORD dst_unused:UNUSED_PAD src0_sel:DWORD src1_sel:BYTE_1
	v_lshrrev_b16_e32 v26, 1, v26
	v_and_b32_e32 v26, 0x7f, v26
	v_add_u16_sdwa v25, v26, v25 dst_sel:DWORD dst_unused:UNUSED_PAD src0_sel:DWORD src1_sel:BYTE_1
	v_lshrrev_b16_e32 v39, 2, v25
	v_mul_lo_u16_e32 v25, 7, v39
	v_sub_u16_e32 v40, v20, v25
	v_mul_lo_u16_sdwa v25, v22, v38 dst_sel:DWORD dst_unused:UNUSED_PAD src0_sel:BYTE_0 src1_sel:DWORD
	v_sub_u16_sdwa v27, v22, v25 dst_sel:DWORD dst_unused:UNUSED_PAD src0_sel:DWORD src1_sel:BYTE_1
	v_mul_lo_u16_e32 v15, 37, v0
	v_lshrrev_b16_e32 v27, 1, v27
	v_lshrrev_b16_e32 v23, 8, v15
	v_and_b32_e32 v27, 0x7f, v27
	v_mul_lo_u16_e32 v15, 7, v23
	v_add_u16_sdwa v25, v27, v25 dst_sel:DWORD dst_unused:UNUSED_PAD src0_sel:DWORD src1_sel:BYTE_1
	v_mul_lo_u16_sdwa v33, v12, v38 dst_sel:DWORD dst_unused:UNUSED_PAD src0_sel:BYTE_0 src1_sel:DWORD
	v_sub_u16_e32 v30, v0, v15
	v_mov_b32_e32 v15, 3
	v_lshrrev_b16_e32 v41, 2, v25
	v_sub_u16_sdwa v27, v12, v33 dst_sel:DWORD dst_unused:UNUSED_PAD src0_sel:DWORD src1_sel:BYTE_1
	v_lshlrev_b32_sdwa v24, v15, v30 dst_sel:DWORD dst_unused:UNUSED_PAD src0_sel:DWORD src1_sel:BYTE_0
	v_mul_lo_u16_e32 v25, 7, v41
	v_lshrrev_b16_e32 v34, 1, v27
	s_waitcnt lgkmcnt(0)
	; wave barrier
	s_waitcnt lgkmcnt(0)
	v_sub_u16_e32 v42, v22, v25
	global_load_dwordx2 v[24:25], v24, s[4:5]
	v_and_b32_e32 v34, 0x7f, v34
	v_add_u16_sdwa v33, v34, v33 dst_sel:DWORD dst_unused:UNUSED_PAD src0_sel:DWORD src1_sel:BYTE_1
	v_lshrrev_b16_e32 v43, 2, v33
	v_mul_lo_u16_e32 v34, 7, v43
	v_lshlrev_b32_sdwa v26, v15, v40 dst_sel:DWORD dst_unused:UNUSED_PAD src0_sel:DWORD src1_sel:BYTE_0
	global_load_dwordx2 v[26:27], v26, s[4:5]
	v_lshlrev_b32_sdwa v32, v15, v42 dst_sel:DWORD dst_unused:UNUSED_PAD src0_sel:DWORD src1_sel:BYTE_0
	global_load_dwordx2 v[32:33], v32, s[4:5]
	v_sub_u16_e32 v48, v12, v34
	v_lshlrev_b32_sdwa v34, v15, v48 dst_sel:DWORD dst_unused:UNUSED_PAD src0_sel:DWORD src1_sel:BYTE_0
	global_load_dwordx2 v[34:35], v34, s[4:5]
	ds_read2_b32 v[36:37], v7 offset0:112 offset1:128
	v_mad_u32_u24 v23, v23, 56, 0
	v_cmp_gt_u32_e64 s[0:1], 14, v0
	v_add3_u32 v13, 0, v13, v9
	s_waitcnt vmcnt(3) lgkmcnt(0)
	v_mul_f32_e32 v49, v36, v25
	v_mul_f32_e32 v50, v58, v25
	v_fma_f32 v49, v58, v24, -v49
	v_fmac_f32_e32 v50, v36, v24
	ds_read2_b32 v[24:25], v7 offset0:144 offset1:160
	s_waitcnt vmcnt(2)
	v_mul_f32_e32 v36, v37, v27
	v_mul_f32_e32 v51, v59, v27
	s_waitcnt vmcnt(1)
	v_mul_f32_e32 v54, v60, v33
	v_fma_f32 v36, v59, v26, -v36
	v_fmac_f32_e32 v51, v37, v26
	s_waitcnt lgkmcnt(0)
	v_mul_f32_e32 v26, v24, v33
	v_fmac_f32_e32 v54, v24, v32
	s_waitcnt vmcnt(0)
	v_mul_f32_e32 v24, v25, v35
	v_fma_f32 v55, v61, v34, -v24
	v_mul_f32_e32 v56, v61, v35
	v_mul_lo_u16_sdwa v24, v14, v38 dst_sel:DWORD dst_unused:UNUSED_PAD src0_sel:BYTE_0 src1_sel:DWORD
	v_fmac_f32_e32 v56, v25, v34
	v_sub_u16_sdwa v25, v14, v24 dst_sel:DWORD dst_unused:UNUSED_PAD src0_sel:DWORD src1_sel:BYTE_1
	v_lshrrev_b16_e32 v25, 1, v25
	v_and_b32_e32 v25, 0x7f, v25
	v_add_u16_sdwa v24, v25, v24 dst_sel:DWORD dst_unused:UNUSED_PAD src0_sel:DWORD src1_sel:BYTE_1
	v_mul_lo_u16_sdwa v25, v10, v38 dst_sel:DWORD dst_unused:UNUSED_PAD src0_sel:BYTE_0 src1_sel:DWORD
	v_fma_f32 v37, v60, v32, -v26
	v_sub_u16_sdwa v26, v10, v25 dst_sel:DWORD dst_unused:UNUSED_PAD src0_sel:DWORD src1_sel:BYTE_1
	v_mul_lo_u16_sdwa v32, v8, v38 dst_sel:DWORD dst_unused:UNUSED_PAD src0_sel:BYTE_0 src1_sel:DWORD
	v_lshrrev_b16_e32 v26, 1, v26
	v_sub_u16_sdwa v33, v8, v32 dst_sel:DWORD dst_unused:UNUSED_PAD src0_sel:DWORD src1_sel:BYTE_1
	v_and_b32_e32 v26, 0x7f, v26
	v_lshrrev_b16_e32 v33, 1, v33
	v_lshrrev_b16_e32 v58, 2, v24
	v_add_u16_sdwa v25, v26, v25 dst_sel:DWORD dst_unused:UNUSED_PAD src0_sel:DWORD src1_sel:BYTE_1
	v_and_b32_e32 v33, 0x7f, v33
	v_mul_lo_u16_e32 v24, 7, v58
	v_lshrrev_b16_e32 v60, 2, v25
	v_add_u16_sdwa v32, v33, v32 dst_sel:DWORD dst_unused:UNUSED_PAD src0_sel:DWORD src1_sel:BYTE_1
	v_sub_u16_e32 v59, v14, v24
	v_mul_lo_u16_e32 v26, 7, v60
	v_lshrrev_b16_e32 v38, 2, v32
	v_lshlrev_b32_sdwa v24, v15, v59 dst_sel:DWORD dst_unused:UNUSED_PAD src0_sel:DWORD src1_sel:BYTE_0
	v_sub_u16_e32 v61, v10, v26
	v_mul_lo_u16_e32 v32, 7, v38
	global_load_dwordx2 v[24:25], v24, s[4:5]
	v_lshlrev_b32_sdwa v26, v15, v61 dst_sel:DWORD dst_unused:UNUSED_PAD src0_sel:DWORD src1_sel:BYTE_0
	global_load_dwordx2 v[26:27], v26, s[4:5]
	v_sub_u16_e32 v62, v8, v32
	v_lshlrev_b32_sdwa v32, v15, v62 dst_sel:DWORD dst_unused:UNUSED_PAD src0_sel:DWORD src1_sel:BYTE_0
	global_load_dwordx2 v[32:33], v32, s[4:5]
	ds_read2_b32 v[34:35], v7 offset0:176 offset1:192
	s_waitcnt vmcnt(2) lgkmcnt(0)
	v_mul_f32_e32 v63, v34, v25
	v_mul_f32_e32 v25, v28, v25
	v_fma_f32 v63, v28, v24, -v63
	v_fmac_f32_e32 v25, v34, v24
	s_waitcnt vmcnt(1)
	v_mul_f32_e32 v24, v35, v27
	v_mul_f32_e32 v27, v29, v27
	v_fma_f32 v24, v29, v26, -v24
	v_fmac_f32_e32 v27, v35, v26
	ds_read_b32 v26, v7 offset:832
	ds_read_b32 v64, v31
	ds_read_b32 v65, v46
	;; [unrolled: 1-line block ×6, first 2 shown]
	s_waitcnt vmcnt(0) lgkmcnt(6)
	v_mul_f32_e32 v29, v26, v33
	v_fma_f32 v29, v73, v32, -v29
	v_mul_f32_e32 v73, v73, v33
	v_fmac_f32_e32 v73, v26, v32
	v_mov_b32_e32 v26, 2
	v_lshlrev_b32_sdwa v30, v26, v30 dst_sel:DWORD dst_unused:UNUSED_PAD src0_sel:DWORD src1_sel:BYTE_0
	v_add3_u32 v23, v23, v30, v9
	v_sub_f32_e32 v30, v66, v49
	v_fma_f32 v32, v66, 2.0, -v30
	ds_read_b32 v49, v45
	s_waitcnt lgkmcnt(0)
	; wave barrier
	s_waitcnt lgkmcnt(0)
	ds_write2_b32 v23, v32, v30 offset1:7
	v_mad_u32_u24 v30, v39, 56, 0
	v_lshlrev_b32_sdwa v32, v26, v40 dst_sel:DWORD dst_unused:UNUSED_PAD src0_sel:DWORD src1_sel:BYTE_0
	v_add3_u32 v30, v30, v32, v9
	v_sub_f32_e32 v32, v72, v36
	v_fma_f32 v33, v72, 2.0, -v32
	ds_write2_b32 v30, v33, v32 offset1:7
	v_mad_u32_u24 v32, v41, 56, 0
	v_lshlrev_b32_sdwa v33, v26, v42 dst_sel:DWORD dst_unused:UNUSED_PAD src0_sel:DWORD src1_sel:BYTE_0
	v_add3_u32 v36, v32, v33, v9
	v_sub_f32_e32 v32, v71, v37
	v_fma_f32 v33, v71, 2.0, -v32
	;; [unrolled: 6-line block ×3, first 2 shown]
	v_sub_f32_e32 v40, v28, v50
	ds_write2_b32 v37, v33, v32 offset1:7
	v_mad_u32_u24 v32, v58, 56, 0
	v_lshlrev_b32_sdwa v33, v26, v59 dst_sel:DWORD dst_unused:UNUSED_PAD src0_sel:DWORD src1_sel:BYTE_0
	v_fma_f32 v41, v28, 2.0, -v40
	v_sub_f32_e32 v28, v68, v63
	v_add3_u32 v39, v32, v33, v9
	v_fma_f32 v32, v68, 2.0, -v28
	v_sub_f32_e32 v24, v69, v24
	ds_write2_b32 v39, v32, v28 offset1:7
	v_mad_u32_u24 v28, v60, 56, 0
	v_lshlrev_b32_sdwa v32, v26, v61 dst_sel:DWORD dst_unused:UNUSED_PAD src0_sel:DWORD src1_sel:BYTE_0
	v_fma_f32 v33, v69, 2.0, -v24
	v_add3_u32 v42, v28, v32, v9
	v_sub_f32_e32 v29, v70, v29
	ds_write2_b32 v42, v33, v24 offset1:7
	v_mad_u32_u24 v24, v38, 56, 0
	v_lshlrev_b32_sdwa v28, v26, v62 dst_sel:DWORD dst_unused:UNUSED_PAD src0_sel:DWORD src1_sel:BYTE_0
	v_fma_f32 v34, v70, 2.0, -v29
	v_add3_u32 v24, v24, v28, v9
	ds_write2_b32 v24, v34, v29 offset1:7
	s_waitcnt lgkmcnt(0)
	; wave barrier
	s_waitcnt lgkmcnt(0)
	ds_read_b32 v48, v5
	ds_read_b32 v50, v31
	ds_read_b32 v55, v46
	ds_read_b32 v57, v21
	ds_read_b32 v58, v47
	ds_read_b32 v59, v45
	ds_read_b32 v60, v44
	ds_read_b32 v61, v7 offset:832
	ds_read2_b32 v[28:29], v7 offset0:112 offset1:128
	ds_read2_b32 v[32:33], v7 offset0:144 offset1:160
	;; [unrolled: 1-line block ×3, first 2 shown]
	s_waitcnt lgkmcnt(0)
	; wave barrier
	s_waitcnt lgkmcnt(0)
	ds_write2_b32 v23, v41, v40 offset1:7
	v_sub_f32_e32 v23, v75, v51
	v_fma_f32 v38, v75, 2.0, -v23
	ds_write2_b32 v30, v38, v23 offset1:7
	v_sub_f32_e32 v23, v49, v54
	v_fma_f32 v30, v49, 2.0, -v23
	v_sub_f32_e32 v38, v64, v56
	v_sub_f32_e32 v25, v65, v25
	;; [unrolled: 1-line block ×4, first 2 shown]
	v_fma_f32 v40, v64, 2.0, -v38
	v_fma_f32 v41, v65, 2.0, -v25
	;; [unrolled: 1-line block ×4, first 2 shown]
	ds_write2_b32 v36, v30, v23 offset1:7
	ds_write2_b32 v37, v40, v38 offset1:7
	;; [unrolled: 1-line block ×5, first 2 shown]
	v_add_u32_e32 v23, -14, v0
	v_cndmask_b32_e64 v24, v23, v0, s[0:1]
	v_mov_b32_e32 v25, 0
	v_mov_b32_e32 v27, 1
	v_lshl_add_u64 v[36:37], v[24:25], 3, s[4:5]
	v_lshrrev_b16_sdwa v23, v27, v20 dst_sel:DWORD dst_unused:UNUSED_PAD src0_sel:DWORD src1_sel:BYTE_0
	s_waitcnt lgkmcnt(0)
	; wave barrier
	s_waitcnt lgkmcnt(0)
	v_mul_lo_u16_e32 v23, 0x93, v23
	v_lshrrev_b16_sdwa v38, v27, v22 dst_sel:DWORD dst_unused:UNUSED_PAD src0_sel:DWORD src1_sel:BYTE_0
	global_load_dwordx2 v[36:37], v[36:37], off offset:56
	v_lshrrev_b16_e32 v30, 10, v23
	v_mul_lo_u16_e32 v38, 0x93, v38
	v_lshrrev_b16_sdwa v39, v27, v12 dst_sel:DWORD dst_unused:UNUSED_PAD src0_sel:DWORD src1_sel:BYTE_0
	v_mul_lo_u16_e32 v23, 14, v30
	v_lshrrev_b16_e32 v51, 10, v38
	v_mul_lo_u16_e32 v39, 0x93, v39
	v_sub_u16_e32 v49, v20, v23
	v_mul_lo_u16_e32 v38, 14, v51
	v_lshrrev_b16_e32 v56, 10, v39
	v_lshlrev_b32_sdwa v23, v15, v49 dst_sel:DWORD dst_unused:UNUSED_PAD src0_sel:DWORD src1_sel:BYTE_0
	v_sub_u16_e32 v54, v22, v38
	v_mul_lo_u16_e32 v40, 14, v56
	v_lshlrev_b32_sdwa v38, v15, v54 dst_sel:DWORD dst_unused:UNUSED_PAD src0_sel:DWORD src1_sel:BYTE_0
	global_load_dwordx2 v[22:23], v23, s[4:5] offset:56
	v_sub_u16_e32 v62, v12, v40
	global_load_dwordx2 v[38:39], v38, s[4:5] offset:56
	v_lshlrev_b32_sdwa v40, v15, v62 dst_sel:DWORD dst_unused:UNUSED_PAD src0_sel:DWORD src1_sel:BYTE_0
	global_load_dwordx2 v[40:41], v40, s[4:5] offset:56
	ds_read2_b32 v[42:43], v7 offset0:112 offset1:128
	v_cmp_lt_u32_e64 s[0:1], 13, v0
	v_lshlrev_b32_e32 v24, 2, v24
	s_waitcnt vmcnt(3) lgkmcnt(0)
	v_mul_f32_e32 v63, v42, v37
	v_mul_f32_e32 v64, v28, v37
	v_fma_f32 v63, v28, v36, -v63
	v_fmac_f32_e32 v64, v42, v36
	ds_read2_b32 v[36:37], v7 offset0:144 offset1:160
	s_waitcnt vmcnt(2)
	v_mul_f32_e32 v28, v43, v23
	v_mul_f32_e32 v65, v29, v23
	v_fma_f32 v42, v29, v22, -v28
	v_fmac_f32_e32 v65, v43, v22
	s_waitcnt vmcnt(1) lgkmcnt(0)
	v_mul_f32_e32 v22, v36, v39
	v_fma_f32 v43, v32, v38, -v22
	v_mul_f32_e32 v39, v32, v39
	s_waitcnt vmcnt(0)
	v_mul_f32_e32 v22, v37, v41
	v_fmac_f32_e32 v39, v36, v38
	v_fma_f32 v38, v33, v40, -v22
	v_lshrrev_b16_sdwa v22, v27, v14 dst_sel:DWORD dst_unused:UNUSED_PAD src0_sel:DWORD src1_sel:BYTE_0
	v_mul_lo_u16_e32 v22, 0x93, v22
	v_lshrrev_b16_sdwa v23, v27, v10 dst_sel:DWORD dst_unused:UNUSED_PAD src0_sel:DWORD src1_sel:BYTE_0
	v_lshrrev_b16_e32 v66, 10, v22
	v_mul_lo_u16_e32 v23, 0x93, v23
	v_lshrrev_b16_sdwa v27, v27, v8 dst_sel:DWORD dst_unused:UNUSED_PAD src0_sel:DWORD src1_sel:BYTE_0
	v_mul_lo_u16_e32 v22, 14, v66
	v_lshrrev_b16_e32 v68, 10, v23
	v_mul_lo_u16_e32 v27, 0x93, v27
	v_sub_u16_e32 v67, v14, v22
	v_mul_lo_u16_e32 v28, 14, v68
	v_lshrrev_b16_e32 v27, 10, v27
	v_mul_f32_e32 v41, v33, v41
	v_lshlrev_b32_sdwa v22, v15, v67 dst_sel:DWORD dst_unused:UNUSED_PAD src0_sel:DWORD src1_sel:BYTE_0
	v_sub_u16_e32 v69, v10, v28
	v_mul_lo_u16_e32 v32, 14, v27
	global_load_dwordx2 v[22:23], v22, s[4:5] offset:56
	v_lshlrev_b32_sdwa v28, v15, v69 dst_sel:DWORD dst_unused:UNUSED_PAD src0_sel:DWORD src1_sel:BYTE_0
	global_load_dwordx2 v[28:29], v28, s[4:5] offset:56
	v_fmac_f32_e32 v41, v37, v40
	v_sub_u16_e32 v40, v8, v32
	v_lshlrev_b32_sdwa v32, v15, v40 dst_sel:DWORD dst_unused:UNUSED_PAD src0_sel:DWORD src1_sel:BYTE_0
	global_load_dwordx2 v[32:33], v32, s[4:5] offset:56
	ds_read2_b32 v[36:37], v7 offset0:176 offset1:192
	s_waitcnt vmcnt(2) lgkmcnt(0)
	v_mul_f32_e32 v70, v36, v23
	v_mul_f32_e32 v23, v34, v23
	v_fma_f32 v70, v34, v22, -v70
	v_fmac_f32_e32 v23, v36, v22
	s_waitcnt vmcnt(1)
	v_mul_f32_e32 v22, v37, v29
	v_mul_f32_e32 v36, v35, v29
	v_fma_f32 v22, v35, v28, -v22
	v_fmac_f32_e32 v36, v37, v28
	ds_read_b32 v28, v7 offset:832
	ds_read_b32 v37, v31
	ds_read_b32 v71, v46
	;; [unrolled: 1-line block ×6, first 2 shown]
	s_waitcnt vmcnt(0) lgkmcnt(6)
	v_mul_f32_e32 v34, v28, v33
	v_fma_f32 v34, v61, v32, -v34
	v_mul_f32_e32 v61, v61, v33
	v_fmac_f32_e32 v61, v28, v32
	v_mov_b32_e32 v28, 0x70
	v_cndmask_b32_e64 v28, 0, v28, s[0:1]
	v_add_u32_e32 v28, 0, v28
	v_add3_u32 v24, v28, v24, v9
	v_sub_f32_e32 v28, v48, v63
	v_fma_f32 v32, v48, 2.0, -v28
	s_movk_i32 s0, 0x70
	ds_read_b32 v48, v45
	s_waitcnt lgkmcnt(0)
	; wave barrier
	s_waitcnt lgkmcnt(0)
	ds_write2_b32 v24, v32, v28 offset1:14
	v_mad_u32_u24 v28, v30, s0, 0
	v_lshlrev_b32_sdwa v30, v26, v49 dst_sel:DWORD dst_unused:UNUSED_PAD src0_sel:DWORD src1_sel:BYTE_0
	v_add3_u32 v30, v28, v30, v9
	v_sub_f32_e32 v28, v60, v42
	v_fma_f32 v32, v60, 2.0, -v28
	ds_write2_b32 v30, v32, v28 offset1:14
	v_mad_u32_u24 v28, v51, s0, 0
	v_lshlrev_b32_sdwa v32, v26, v54 dst_sel:DWORD dst_unused:UNUSED_PAD src0_sel:DWORD src1_sel:BYTE_0
	v_add3_u32 v42, v28, v32, v9
	v_sub_f32_e32 v28, v59, v43
	v_fma_f32 v32, v59, 2.0, -v28
	;; [unrolled: 6-line block ×3, first 2 shown]
	ds_write2_b32 v43, v32, v28 offset1:14
	v_mad_u32_u24 v28, v66, s0, 0
	v_lshlrev_b32_sdwa v32, v26, v67 dst_sel:DWORD dst_unused:UNUSED_PAD src0_sel:DWORD src1_sel:BYTE_0
	v_add3_u32 v38, v28, v32, v9
	v_sub_f32_e32 v49, v29, v64
	v_sub_f32_e32 v28, v55, v70
	v_fma_f32 v50, v29, 2.0, -v49
	v_fma_f32 v29, v55, 2.0, -v28
	v_sub_f32_e32 v22, v57, v22
	ds_write2_b32 v38, v29, v28 offset1:14
	v_mad_u32_u24 v28, v68, s0, 0
	v_lshlrev_b32_sdwa v29, v26, v69 dst_sel:DWORD dst_unused:UNUSED_PAD src0_sel:DWORD src1_sel:BYTE_0
	v_fma_f32 v32, v57, 2.0, -v22
	v_add3_u32 v51, v28, v29, v9
	v_sub_f32_e32 v33, v58, v34
	ds_write2_b32 v51, v32, v22 offset1:14
	v_mad_u32_u24 v22, v27, s0, 0
	v_lshlrev_b32_sdwa v27, v26, v40 dst_sel:DWORD dst_unused:UNUSED_PAD src0_sel:DWORD src1_sel:BYTE_0
	v_fma_f32 v34, v58, 2.0, -v33
	v_add3_u32 v22, v22, v27, v9
	ds_write2_b32 v22, v34, v33 offset1:14
	s_waitcnt lgkmcnt(0)
	; wave barrier
	s_waitcnt lgkmcnt(0)
	ds_read_b32 v27, v5
	ds_read_b32 v56, v31
	ds_read_b32 v57, v46
	ds_read_b32 v58, v21
	ds_read_b32 v59, v47
	ds_read_b32 v60, v45
	ds_read_b32 v62, v44
	ds_read_b32 v63, v7 offset:832
	ds_read2_b32 v[28:29], v7 offset0:112 offset1:128
	ds_read2_b32 v[32:33], v7 offset0:144 offset1:160
	;; [unrolled: 1-line block ×3, first 2 shown]
	s_waitcnt lgkmcnt(0)
	; wave barrier
	s_waitcnt lgkmcnt(0)
	ds_write2_b32 v24, v50, v49 offset1:14
	v_sub_f32_e32 v24, v74, v65
	v_fma_f32 v40, v74, 2.0, -v24
	ds_write2_b32 v30, v40, v24 offset1:14
	v_sub_f32_e32 v24, v48, v39
	v_fma_f32 v30, v48, 2.0, -v24
	v_sub_f32_e32 v39, v37, v41
	v_sub_f32_e32 v23, v71, v23
	v_sub_f32_e32 v36, v72, v36
	v_sub_f32_e32 v48, v73, v61
	v_fma_f32 v37, v37, 2.0, -v39
	v_fma_f32 v40, v71, 2.0, -v23
	;; [unrolled: 1-line block ×4, first 2 shown]
	ds_write2_b32 v42, v30, v24 offset1:14
	ds_write2_b32 v43, v37, v39 offset1:14
	;; [unrolled: 1-line block ×5, first 2 shown]
	v_lshl_add_u64 v[22:23], v[0:1], 3, s[4:5]
	s_waitcnt lgkmcnt(0)
	; wave barrier
	s_waitcnt lgkmcnt(0)
	global_load_dwordx2 v[36:37], v[22:23], off offset:168
	v_add_u32_e32 v24, -12, v0
	v_cmp_gt_u32_e64 s[0:1], 28, v20
	v_lshrrev_b16_sdwa v30, v26, v12 dst_sel:DWORD dst_unused:UNUSED_PAD src0_sel:DWORD src1_sel:BYTE_0
	v_mul_lo_u16_e32 v30, 37, v30
	v_cndmask_b32_e64 v24, v24, v20, s[0:1]
	v_lshl_add_u64 v[38:39], v[24:25], 3, s[4:5]
	global_load_dwordx2 v[38:39], v[38:39], off offset:168
	ds_read2_b32 v[40:41], v7 offset0:112 offset1:128
	v_lshrrev_b16_e32 v30, 8, v30
	v_mul_lo_u16_e32 v42, 28, v30
	v_sub_u16_e32 v61, v12, v42
	v_lshlrev_b32_sdwa v50, v15, v61 dst_sel:DWORD dst_unused:UNUSED_PAD src0_sel:DWORD src1_sel:BYTE_0
	global_load_dwordx2 v[42:43], v50, s[4:5] offset:168
	global_load_dwordx2 v[48:49], v[22:23], off offset:200
	v_cmp_lt_u32_e64 s[0:1], 27, v20
	v_lshlrev_b32_e32 v24, 2, v24
	s_waitcnt vmcnt(3) lgkmcnt(0)
	v_mul_f32_e32 v50, v40, v37
	v_fma_f32 v64, v28, v36, -v50
	v_mul_f32_e32 v65, v28, v37
	v_lshrrev_b16_sdwa v28, v26, v14 dst_sel:DWORD dst_unused:UNUSED_PAD src0_sel:DWORD src1_sel:BYTE_0
	v_mul_lo_u16_e32 v28, 37, v28
	v_mov_b32_e32 v37, 28
	v_mul_lo_u16_sdwa v28, v28, v37 dst_sel:DWORD dst_unused:UNUSED_PAD src0_sel:BYTE_1 src1_sel:DWORD
	v_sub_u16_e32 v28, v14, v28
	v_lshrrev_b16_sdwa v50, v26, v10 dst_sel:DWORD dst_unused:UNUSED_PAD src0_sel:DWORD src1_sel:BYTE_0
	v_and_b32_e32 v66, 0xff, v28
	v_mul_lo_u16_e32 v50, 37, v50
	v_lshlrev_b32_e32 v28, 3, v66
	v_lshrrev_b16_e32 v67, 8, v50
	global_load_dwordx2 v[50:51], v28, s[4:5] offset:168
	v_mul_lo_u16_e32 v28, 28, v67
	v_sub_u16_e32 v68, v10, v28
	v_lshrrev_b16_sdwa v28, v26, v8 dst_sel:DWORD dst_unused:UNUSED_PAD src0_sel:DWORD src1_sel:BYTE_0
	v_mul_lo_u16_e32 v28, 37, v28
	v_mul_lo_u16_sdwa v28, v28, v37 dst_sel:DWORD dst_unused:UNUSED_PAD src0_sel:BYTE_1 src1_sel:DWORD
	v_lshlrev_b32_sdwa v15, v15, v68 dst_sel:DWORD dst_unused:UNUSED_PAD src0_sel:DWORD src1_sel:BYTE_0
	v_sub_u16_e32 v28, v8, v28
	global_load_dwordx2 v[54:55], v15, s[4:5] offset:168
	v_fmac_f32_e32 v65, v40, v36
	v_and_b32_e32 v40, 0xff, v28
	s_waitcnt vmcnt(4)
	v_mul_f32_e32 v15, v41, v39
	v_lshlrev_b32_e32 v28, 3, v40
	v_fma_f32 v15, v29, v38, -v15
	v_mul_f32_e32 v39, v29, v39
	global_load_dwordx2 v[28:29], v28, s[4:5] offset:168
	ds_read2_b32 v[36:37], v7 offset0:144 offset1:160
	v_fmac_f32_e32 v39, v41, v38
	s_waitcnt vmcnt(3)
	v_mul_f32_e32 v41, v32, v49
	v_sub_f32_e32 v15, v62, v15
	s_waitcnt lgkmcnt(0)
	v_mul_f32_e32 v38, v36, v49
	v_fma_f32 v38, v32, v48, -v38
	v_mul_f32_e32 v32, v37, v43
	v_fmac_f32_e32 v41, v36, v48
	v_fma_f32 v36, v33, v42, -v32
	v_mul_f32_e32 v43, v33, v43
	ds_read2_b32 v[32:33], v7 offset0:176 offset1:192
	v_fmac_f32_e32 v43, v37, v42
	s_waitcnt vmcnt(2) lgkmcnt(0)
	v_mul_f32_e32 v37, v32, v51
	v_fma_f32 v37, v34, v50, -v37
	v_mul_f32_e32 v34, v34, v51
	v_fmac_f32_e32 v34, v32, v50
	s_waitcnt vmcnt(1)
	v_mul_f32_e32 v32, v33, v55
	v_fma_f32 v32, v35, v54, -v32
	v_mul_f32_e32 v35, v35, v55
	v_fmac_f32_e32 v35, v33, v54
	ds_read_b32 v33, v7 offset:832
	ds_read_b32 v42, v31
	ds_read_b32 v48, v46
	;; [unrolled: 1-line block ×7, first 2 shown]
	s_waitcnt vmcnt(0) lgkmcnt(0)
	v_mul_f32_e32 v55, v33, v29
	v_fma_f32 v55, v63, v28, -v55
	v_mul_f32_e32 v63, v63, v29
	v_fmac_f32_e32 v63, v33, v28
	v_sub_f32_e32 v28, v27, v64
	v_fma_f32 v27, v27, 2.0, -v28
	; wave barrier
	ds_write2_b32 v7, v27, v28 offset1:28
	v_mov_b32_e32 v27, 0xe0
	v_cndmask_b32_e64 v20, 0, v27, s[0:1]
	v_add_u32_e32 v20, 0, v20
	v_add3_u32 v20, v20, v24, v9
	v_fma_f32 v24, v62, 2.0, -v15
	ds_write2_b32 v20, v24, v15 offset1:28
	v_sub_f32_e32 v15, v60, v38
	v_fma_f32 v24, v60, 2.0, -v15
	ds_write2_b32 v13, v24, v15 offset0:60 offset1:88
	s_movk_i32 s0, 0xe0
	v_sub_f32_e32 v15, v54, v65
	v_fma_f32 v24, v54, 2.0, -v15
	v_sub_f32_e32 v27, v56, v36
	v_mad_u32_u24 v30, v30, s0, 0
	v_lshlrev_b32_sdwa v54, v26, v61 dst_sel:DWORD dst_unused:UNUSED_PAD src0_sel:DWORD src1_sel:BYTE_0
	v_fma_f32 v28, v56, 2.0, -v27
	v_add3_u32 v30, v30, v54, v9
	v_sub_f32_e32 v29, v57, v37
	v_sub_f32_e32 v32, v58, v32
	;; [unrolled: 1-line block ×3, first 2 shown]
	ds_write2_b32 v30, v28, v27 offset1:28
	v_mad_u32_u24 v27, v67, s0, 0
	v_lshlrev_b32_sdwa v26, v26, v68 dst_sel:DWORD dst_unused:UNUSED_PAD src0_sel:DWORD src1_sel:BYTE_0
	v_fma_f32 v33, v57, 2.0, -v29
	v_fma_f32 v36, v58, 2.0, -v32
	;; [unrolled: 1-line block ×3, first 2 shown]
	v_lshl_add_u32 v54, v66, 2, v11
	v_add3_u32 v55, v27, v26, v9
	v_lshl_add_u32 v11, v40, 2, v11
	ds_write2_b32 v54, v33, v29 offset0:112 offset1:140
	ds_write2_b32 v55, v36, v32 offset1:28
	ds_write2_b32 v11, v38, v37 offset0:168 offset1:196
	s_waitcnt lgkmcnt(0)
	; wave barrier
	s_waitcnt lgkmcnt(0)
	ds_read_b32 v56, v5
	ds_read2_b32 v[26:27], v7 offset0:112 offset1:128
	ds_read2_b32 v[28:29], v7 offset0:144 offset1:160
	ds_read2_b32 v[32:33], v7 offset0:176 offset1:192
	ds_read_b32 v57, v31
	ds_read_b32 v58, v46
	;; [unrolled: 1-line block ×6, first 2 shown]
	ds_read_b32 v64, v7 offset:832
	s_waitcnt lgkmcnt(0)
	; wave barrier
	s_waitcnt lgkmcnt(0)
	ds_write2_b32 v7, v24, v15 offset1:28
	v_sub_f32_e32 v15, v51, v39
	v_sub_f32_e32 v38, v42, v43
	v_fma_f32 v24, v51, 2.0, -v15
	v_sub_f32_e32 v36, v69, v41
	v_fma_f32 v39, v42, 2.0, -v38
	v_sub_f32_e32 v34, v48, v34
	v_sub_f32_e32 v35, v49, v35
	;; [unrolled: 1-line block ×3, first 2 shown]
	v_fma_f32 v37, v69, 2.0, -v36
	v_fma_f32 v40, v48, 2.0, -v34
	;; [unrolled: 1-line block ×4, first 2 shown]
	ds_write2_b32 v20, v24, v15 offset1:28
	ds_write2_b32 v13, v37, v36 offset0:60 offset1:88
	ds_write2_b32 v30, v39, v38 offset1:28
	ds_write2_b32 v54, v40, v34 offset0:112 offset1:140
	;; [unrolled: 2-line block ×3, first 2 shown]
	s_waitcnt lgkmcnt(0)
	; wave barrier
	s_waitcnt lgkmcnt(0)
	global_load_dwordx2 v[34:35], v[22:23], off offset:392
	v_lshl_add_u64 v[42:43], v[18:19], 3, s[4:5]
	global_load_dwordx2 v[18:19], v[42:43], off offset:392
	v_lshl_add_u64 v[40:41], v[16:17], 3, s[4:5]
	global_load_dwordx2 v[16:17], v[40:41], off offset:392
	v_add_u32_e32 v11, -8, v0
	v_cmp_gt_u32_e64 s[0:1], 56, v12
	s_waitcnt vmcnt(2)
	v_mul_f32_e32 v15, v26, v35
	v_cndmask_b32_e64 v24, v11, v12, s[0:1]
	v_lshl_add_u64 v[36:37], v[24:25], 3, s[4:5]
	global_load_dwordx2 v[38:39], v[36:37], off offset:392
	global_load_dwordx2 v[48:49], v[22:23], off offset:456
	;; [unrolled: 1-line block ×4, first 2 shown]
	ds_read2_b32 v[36:37], v7 offset0:112 offset1:128
	s_waitcnt vmcnt(5)
	v_mul_f32_e32 v63, v27, v19
	v_cmp_lt_u32_e64 s[0:1], 55, v12
	s_waitcnt lgkmcnt(0)
	v_mul_f32_e32 v11, v36, v35
	v_fma_f32 v11, v26, v34, -v11
	v_fmac_f32_e32 v15, v36, v34
	ds_read2_b32 v[34:35], v7 offset0:144 offset1:160
	v_mul_f32_e32 v20, v37, v19
	v_fma_f32 v20, v27, v18, -v20
	v_fmac_f32_e32 v63, v37, v18
	ds_read2_b32 v[18:19], v7 offset0:176 offset1:192
	s_waitcnt vmcnt(4) lgkmcnt(1)
	v_mul_f32_e32 v26, v34, v17
	v_mul_f32_e32 v17, v28, v17
	v_fma_f32 v26, v28, v16, -v26
	v_fmac_f32_e32 v17, v34, v16
	v_sub_f32_e32 v11, v56, v11
	v_sub_f32_e32 v20, v62, v20
	;; [unrolled: 1-line block ×3, first 2 shown]
	s_waitcnt vmcnt(3)
	v_mul_f32_e32 v16, v35, v39
	v_mul_f32_e32 v39, v29, v39
	v_fmac_f32_e32 v39, v35, v38
	s_waitcnt vmcnt(2)
	v_mul_f32_e32 v35, v32, v49
	s_waitcnt lgkmcnt(0)
	v_mul_f32_e32 v27, v18, v49
	v_fmac_f32_e32 v35, v18, v48
	s_waitcnt vmcnt(1)
	v_mul_f32_e32 v18, v19, v51
	v_fma_f32 v18, v33, v50, -v18
	v_mul_f32_e32 v33, v33, v51
	v_fma_f32 v16, v29, v38, -v16
	v_fma_f32 v27, v32, v48, -v27
	ds_read_b32 v48, v31
	ds_read_b32 v49, v46
	;; [unrolled: 1-line block ×4, first 2 shown]
	ds_read_b32 v28, v7 offset:832
	v_fmac_f32_e32 v33, v19, v50
	ds_read_b32 v19, v45
	ds_read_b32 v50, v44
	;; [unrolled: 1-line block ×3, first 2 shown]
	s_waitcnt vmcnt(0)
	v_mul_f32_e32 v51, v64, v55
	v_fma_f32 v32, v61, 2.0, -v26
	s_waitcnt lgkmcnt(3)
	v_mul_f32_e32 v30, v28, v55
	v_fmac_f32_e32 v51, v28, v54
	s_waitcnt lgkmcnt(0)
	v_sub_f32_e32 v15, v29, v15
	v_fma_f32 v28, v56, 2.0, -v11
	v_fma_f32 v30, v64, v54, -v30
	v_fma_f32 v54, v29, 2.0, -v15
	v_fma_f32 v29, v62, 2.0, -v20
	s_waitcnt lgkmcnt(0)
	; wave barrier
	ds_write2_b32 v7, v28, v11 offset1:56
	ds_write2_b32 v44, v29, v20 offset1:56
	;; [unrolled: 1-line block ×3, first 2 shown]
	v_mov_b32_e32 v11, 0x1c0
	v_cndmask_b32_e64 v11, 0, v11, s[0:1]
	v_sub_f32_e32 v16, v57, v16
	v_sub_f32_e32 v27, v58, v27
	;; [unrolled: 1-line block ×4, first 2 shown]
	v_add_u32_e32 v11, 0, v11
	v_lshlrev_b32_e32 v20, 2, v24
	v_fma_f32 v34, v57, 2.0, -v16
	v_fma_f32 v36, v58, 2.0, -v27
	;; [unrolled: 1-line block ×4, first 2 shown]
	v_add3_u32 v9, v11, v20, v9
	ds_write2_b32 v9, v34, v16 offset1:56
	ds_write2_b32 v13, v36, v37 offset0:120 offset1:136
	ds_write2_b32 v13, v38, v27 offset0:152 offset1:176
	;; [unrolled: 1-line block ×3, first 2 shown]
	s_waitcnt lgkmcnt(0)
	; wave barrier
	s_waitcnt lgkmcnt(0)
	ds_read_b32 v32, v5
	ds_read2_b32 v[36:37], v7 offset0:112 offset1:128
	ds_read2_b32 v[28:29], v7 offset0:144 offset1:160
	;; [unrolled: 1-line block ×3, first 2 shown]
	ds_read_b32 v30, v31
	ds_read_b32 v24, v46
	;; [unrolled: 1-line block ×6, first 2 shown]
	ds_read_b32 v18, v7 offset:832
	v_sub_f32_e32 v11, v50, v63
	s_waitcnt lgkmcnt(0)
	; wave barrier
	s_waitcnt lgkmcnt(0)
	ds_write2_b32 v7, v54, v15 offset1:56
	v_fma_f32 v15, v50, 2.0, -v11
	ds_write2_b32 v44, v15, v11 offset1:56
	v_sub_f32_e32 v11, v19, v17
	v_sub_f32_e32 v35, v49, v35
	v_fma_f32 v15, v19, 2.0, -v11
	v_sub_f32_e32 v17, v48, v39
	v_fma_f32 v39, v49, 2.0, -v35
	v_sub_f32_e32 v33, v65, v33
	v_sub_f32_e32 v49, v66, v51
	v_fma_f32 v19, v48, 2.0, -v17
	v_fma_f32 v48, v65, 2.0, -v33
	;; [unrolled: 1-line block ×3, first 2 shown]
	ds_write2_b32 v45, v15, v11 offset1:56
	ds_write2_b32 v9, v19, v17 offset1:56
	ds_write2_b32 v13, v39, v48 offset0:120 offset1:136
	ds_write2_b32 v13, v50, v35 offset0:152 offset1:176
	;; [unrolled: 1-line block ×3, first 2 shown]
	s_waitcnt lgkmcnt(0)
	; wave barrier
	s_waitcnt lgkmcnt(0)
	s_and_saveexec_b64 s[0:1], vcc
	s_cbranch_execz .LBB0_15
; %bb.14:
	global_load_dwordx2 v[48:49], v[22:23], off offset:840
	global_load_dwordx2 v[50:51], v[42:43], off offset:840
	;; [unrolled: 1-line block ×3, first 2 shown]
	v_mov_b32_e32 v13, v25
	v_lshl_add_u64 v[12:13], v[12:13], 3, s[4:5]
	v_mov_b32_e32 v9, v25
	ds_read2_b32 v[22:23], v7 offset0:176 offset1:192
	v_mov_b32_e32 v11, v25
	v_mov_b32_e32 v15, v25
	ds_read2_b32 v[42:43], v7 offset0:144 offset1:160
	ds_read2_b32 v[56:57], v7 offset0:112 offset1:128
	ds_read_b32 v17, v47
	ds_read_b32 v21, v21
	ds_read_b32 v25, v46
	ds_read_b32 v31, v31
	ds_read_b32 v35, v45
	ds_read_b32 v39, v44
	ds_read_b32 v40, v7 offset:832
	ds_read_b32 v33, v5
	global_load_dwordx2 v[12:13], v[12:13], off offset:840
	v_lshl_add_u64 v[14:15], v[14:15], 3, s[4:5]
	v_lshl_add_u64 v[8:9], v[8:9], 3, s[4:5]
	;; [unrolled: 1-line block ×3, first 2 shown]
	global_load_dwordx2 v[74:75], v[14:15], off offset:840
	global_load_dwordx2 v[76:77], v[10:11], off offset:840
	;; [unrolled: 1-line block ×3, first 2 shown]
	v_mad_u64_u32 v[46:47], s[0:1], s8, v6, 0
	v_or_b32_e32 v41, 0x80, v0
	v_mad_u64_u32 v[62:63], s[0:1], s8, v4, 0
	v_mov_b32_e32 v66, v47
	v_mul_lo_u32 v5, s9, v0
	v_mul_lo_u32 v1, s8, v1
	v_mad_u64_u32 v[44:45], s[0:1], s8, v0, 0
	v_mad_u64_u32 v[68:69], s[0:1], s8, v41, 0
	v_mov_b32_e32 v70, v63
	v_mad_u64_u32 v[6:7], s[0:1], s9, v6, v[66:67]
	v_add3_u32 v45, v45, v1, v5
	v_mad_u64_u32 v[4:5], s[0:1], s9, v4, v[70:71]
	v_mov_b32_e32 v72, v69
	v_mov_b32_e32 v47, v6
	v_or_b32_e32 v19, 0x70, v0
	v_mad_u64_u32 v[8:9], s[0:1], s9, v41, v[72:73]
	v_mov_b32_e32 v63, v4
	v_lshl_add_u64 v[4:5], v[46:47], 3, v[2:3]
	s_waitcnt lgkmcnt(8)
	v_mov_b32_e32 v46, v57
	v_mov_b32_e32 v58, v37
	;; [unrolled: 1-line block ×3, first 2 shown]
	v_or_b32_e32 v59, 0x90, v0
	v_mad_u64_u32 v[64:65], s[0:1], s8, v19, 0
	v_mov_b32_e32 v69, v8
	v_lshl_add_u64 v[8:9], v[62:63], 3, v[2:3]
	v_mov_b32_e32 v70, v65
	v_mad_u64_u32 v[66:67], s[0:1], s8, v59, 0
	v_mad_u64_u32 v[70:71], s[0:1], s9, v19, v[70:71]
	v_lshl_add_u64 v[44:45], v[44:45], 3, v[2:3]
	v_mov_b32_e32 v6, v67
	v_mov_b32_e32 v65, v70
	v_lshl_add_u64 v[10:11], v[64:65], 3, v[2:3]
	v_lshl_add_u64 v[14:15], v[68:69], 3, v[2:3]
	v_or_b32_e32 v1, 0xa0, v0
	s_waitcnt vmcnt(6)
	v_pk_mul_f32 v[56:57], v[56:57], v[48:49] op_sel:[0,1] op_sel_hi:[0,0]
	s_waitcnt vmcnt(5)
	v_pk_mul_f32 v[46:47], v[46:47], v[50:51] op_sel:[0,1] op_sel_hi:[0,0]
	v_pk_fma_f32 v[62:63], v[36:37], v[48:49], v[56:57] neg_lo:[0,0,1] neg_hi:[0,0,1]
	v_pk_fma_f32 v[36:37], v[36:37], v[48:49], v[56:57] op_sel_hi:[0,1,1]
	v_pk_fma_f32 v[48:49], v[58:59], v[50:51], v[46:47] neg_lo:[0,0,1] neg_hi:[0,0,1]
	v_pk_fma_f32 v[46:47], v[60:61], v[50:51], v[46:47] op_sel_hi:[0,1,1]
	v_mov_b32_e32 v63, v37
	v_mov_b32_e32 v49, v47
	s_waitcnt lgkmcnt(0)
	v_pk_add_f32 v[36:37], v[32:33], v[62:63] neg_lo:[0,1] neg_hi:[0,1]
	v_pk_add_f32 v[46:47], v[38:39], v[48:49] neg_lo:[0,1] neg_hi:[0,1]
	v_pk_fma_f32 v[32:33], v[32:33], 2.0, v[36:37] op_sel_hi:[1,0,1] neg_lo:[0,0,1] neg_hi:[0,0,1]
	v_pk_fma_f32 v[38:39], v[38:39], 2.0, v[46:47] op_sel_hi:[1,0,1] neg_lo:[0,0,1] neg_hi:[0,0,1]
	global_store_dwordx2 v[44:45], v[32:33], off
	global_store_dwordx2 v[10:11], v[36:37], off
	;; [unrolled: 1-line block ×4, first 2 shown]
	v_mad_u64_u32 v[4:5], s[0:1], s9, v59, v[6:7]
	s_waitcnt vmcnt(8)
	v_pk_mul_f32 v[6:7], v[42:43], v[54:55] op_sel:[0,1] op_sel_hi:[0,0]
	v_pk_fma_f32 v[10:11], v[28:29], v[54:55], v[6:7] neg_lo:[0,0,1] neg_hi:[0,0,1]
	v_pk_fma_f32 v[6:7], v[28:29], v[54:55], v[6:7] op_sel_hi:[0,1,1]
	v_mov_b32_e32 v11, v7
	v_mov_b32_e32 v67, v4
	v_pk_add_f32 v[6:7], v[34:35], v[10:11] neg_lo:[0,1] neg_hi:[0,1]
	v_lshl_add_u64 v[4:5], v[66:67], 3, v[2:3]
	v_pk_fma_f32 v[10:11], v[34:35], 2.0, v[6:7] op_sel_hi:[1,0,1] neg_lo:[0,0,1] neg_hi:[0,0,1]
	global_store_dwordx2 v[8:9], v[10:11], off
	global_store_dwordx2 v[4:5], v[6:7], off
	v_mad_u64_u32 v[4:5], s[0:1], s8, v53, 0
	v_mov_b32_e32 v6, v5
	v_mad_u64_u32 v[6:7], s[0:1], s9, v53, v[6:7]
	v_mov_b32_e32 v5, v6
	;; [unrolled: 2-line block ×4, first 2 shown]
	v_mov_b32_e32 v7, v8
	v_mov_b32_e32 v8, v29
	v_mov_b32_e32 v10, v29
	s_waitcnt vmcnt(9)
	v_pk_mul_f32 v[14:15], v[14:15], v[12:13] op_sel:[0,1] op_sel_hi:[0,0]
	v_pk_fma_f32 v[8:9], v[8:9], v[12:13], v[14:15] neg_lo:[0,0,1] neg_hi:[0,0,1]
	v_pk_fma_f32 v[10:11], v[10:11], v[12:13], v[14:15] op_sel_hi:[0,1,1]
	v_mov_b32_e32 v9, v11
	v_pk_add_f32 v[8:9], v[30:31], v[8:9] neg_lo:[0,1] neg_hi:[0,1]
	v_lshl_add_u64 v[4:5], v[4:5], 3, v[2:3]
	v_pk_fma_f32 v[10:11], v[30:31], 2.0, v[8:9] op_sel_hi:[1,0,1] neg_lo:[0,0,1] neg_hi:[0,0,1]
	v_lshl_add_u64 v[6:7], v[6:7], 3, v[2:3]
	global_store_dwordx2 v[4:5], v[10:11], off
	global_store_dwordx2 v[6:7], v[8:9], off
	v_mad_u64_u32 v[4:5], s[0:1], s8, v52, 0
	v_mov_b32_e32 v6, v5
	v_mad_u64_u32 v[6:7], s[0:1], s9, v52, v[6:7]
	v_or_b32_e32 v1, 0xb0, v0
	v_mov_b32_e32 v5, v6
	v_mad_u64_u32 v[6:7], s[0:1], s8, v1, 0
	v_mov_b32_e32 v8, v7
	v_mad_u64_u32 v[8:9], s[0:1], s9, v1, v[8:9]
	v_mov_b32_e32 v7, v8
	s_waitcnt vmcnt(10)
	v_pk_mul_f32 v[8:9], v[22:23], v[74:75] op_sel:[0,1] op_sel_hi:[0,0]
	v_pk_fma_f32 v[10:11], v[26:27], v[74:75], v[8:9] neg_lo:[0,0,1] neg_hi:[0,0,1]
	v_pk_fma_f32 v[8:9], v[26:27], v[74:75], v[8:9] op_sel_hi:[0,1,1]
	v_mov_b32_e32 v11, v9
	v_pk_add_f32 v[8:9], v[24:25], v[10:11] neg_lo:[0,1] neg_hi:[0,1]
	v_lshl_add_u64 v[4:5], v[4:5], 3, v[2:3]
	v_pk_fma_f32 v[10:11], v[24:25], 2.0, v[8:9] op_sel_hi:[1,0,1] neg_lo:[0,0,1] neg_hi:[0,0,1]
	v_or_b32_e32 v1, 0x50, v0
	v_lshl_add_u64 v[6:7], v[6:7], 3, v[2:3]
	global_store_dwordx2 v[4:5], v[10:11], off
	global_store_dwordx2 v[6:7], v[8:9], off
	v_mad_u64_u32 v[4:5], s[0:1], s8, v1, 0
	v_mov_b32_e32 v6, v5
	v_mad_u64_u32 v[6:7], s[0:1], s9, v1, v[6:7]
	v_or_b32_e32 v1, 0xc0, v0
	v_mov_b32_e32 v5, v6
	v_mad_u64_u32 v[6:7], s[0:1], s8, v1, 0
	v_mov_b32_e32 v8, v7
	v_mad_u64_u32 v[8:9], s[0:1], s9, v1, v[8:9]
	v_mov_b32_e32 v12, v23
	v_mov_b32_e32 v7, v8
	;; [unrolled: 1-line block ×4, first 2 shown]
	s_waitcnt vmcnt(11)
	v_pk_mul_f32 v[12:13], v[12:13], v[76:77] op_sel:[0,1] op_sel_hi:[0,0]
	v_pk_fma_f32 v[8:9], v[8:9], v[76:77], v[12:13] neg_lo:[0,0,1] neg_hi:[0,0,1]
	v_pk_fma_f32 v[10:11], v[10:11], v[76:77], v[12:13] op_sel_hi:[0,1,1]
	v_mov_b32_e32 v9, v11
	v_pk_add_f32 v[8:9], v[20:21], v[8:9] neg_lo:[0,1] neg_hi:[0,1]
	v_lshl_add_u64 v[4:5], v[4:5], 3, v[2:3]
	v_pk_fma_f32 v[10:11], v[20:21], 2.0, v[8:9] op_sel_hi:[1,0,1] neg_lo:[0,0,1] neg_hi:[0,0,1]
	v_or_b32_e32 v1, 0x60, v0
	v_lshl_add_u64 v[6:7], v[6:7], 3, v[2:3]
	global_store_dwordx2 v[4:5], v[10:11], off
	global_store_dwordx2 v[6:7], v[8:9], off
	v_mad_u64_u32 v[4:5], s[0:1], s8, v1, 0
	v_mov_b32_e32 v6, v5
	v_mad_u64_u32 v[6:7], s[0:1], s9, v1, v[6:7]
	v_or_b32_e32 v7, 0xd0, v0
	v_mad_u64_u32 v[0:1], s[0:1], s8, v7, 0
	v_mov_b32_e32 v5, v6
	v_mov_b32_e32 v6, v1
	v_mad_u64_u32 v[6:7], s[0:1], s9, v7, v[6:7]
	v_mov_b32_e32 v1, v6
	v_lshl_add_u64 v[4:5], v[4:5], 3, v[2:3]
	v_lshl_add_u64 v[0:1], v[0:1], 3, v[2:3]
	s_waitcnt vmcnt(12)
	v_pk_mul_f32 v[2:3], v[40:41], v[78:79] op_sel:[0,1] op_sel_hi:[0,0]
	v_pk_fma_f32 v[6:7], v[18:19], v[78:79], v[2:3] neg_lo:[0,0,1] neg_hi:[0,0,1]
	v_pk_fma_f32 v[2:3], v[18:19], v[78:79], v[2:3] op_sel_hi:[0,1,1]
	v_mov_b32_e32 v7, v3
	v_pk_add_f32 v[2:3], v[16:17], v[6:7] neg_lo:[0,1] neg_hi:[0,1]
	s_nop 0
	v_pk_fma_f32 v[6:7], v[16:17], 2.0, v[2:3] op_sel_hi:[1,0,1] neg_lo:[0,0,1] neg_hi:[0,0,1]
	global_store_dwordx2 v[4:5], v[6:7], off
	global_store_dwordx2 v[0:1], v[2:3], off
.LBB0_15:
	s_endpgm
	.section	.rodata,"a",@progbits
	.p2align	6, 0x0
	.amdhsa_kernel fft_rtc_fwd_len224_factors_7_2_2_2_2_2_wgs_64_tpt_16_halfLds_sp_ip_CI_sbrr_dirReg
		.amdhsa_group_segment_fixed_size 0
		.amdhsa_private_segment_fixed_size 0
		.amdhsa_kernarg_size 88
		.amdhsa_user_sgpr_count 2
		.amdhsa_user_sgpr_dispatch_ptr 0
		.amdhsa_user_sgpr_queue_ptr 0
		.amdhsa_user_sgpr_kernarg_segment_ptr 1
		.amdhsa_user_sgpr_dispatch_id 0
		.amdhsa_user_sgpr_kernarg_preload_length 0
		.amdhsa_user_sgpr_kernarg_preload_offset 0
		.amdhsa_user_sgpr_private_segment_size 0
		.amdhsa_uses_dynamic_stack 0
		.amdhsa_enable_private_segment 0
		.amdhsa_system_sgpr_workgroup_id_x 1
		.amdhsa_system_sgpr_workgroup_id_y 0
		.amdhsa_system_sgpr_workgroup_id_z 0
		.amdhsa_system_sgpr_workgroup_info 0
		.amdhsa_system_vgpr_workitem_id 0
		.amdhsa_next_free_vgpr 80
		.amdhsa_next_free_sgpr 24
		.amdhsa_accum_offset 80
		.amdhsa_reserve_vcc 1
		.amdhsa_float_round_mode_32 0
		.amdhsa_float_round_mode_16_64 0
		.amdhsa_float_denorm_mode_32 3
		.amdhsa_float_denorm_mode_16_64 3
		.amdhsa_dx10_clamp 1
		.amdhsa_ieee_mode 1
		.amdhsa_fp16_overflow 0
		.amdhsa_tg_split 0
		.amdhsa_exception_fp_ieee_invalid_op 0
		.amdhsa_exception_fp_denorm_src 0
		.amdhsa_exception_fp_ieee_div_zero 0
		.amdhsa_exception_fp_ieee_overflow 0
		.amdhsa_exception_fp_ieee_underflow 0
		.amdhsa_exception_fp_ieee_inexact 0
		.amdhsa_exception_int_div_zero 0
	.end_amdhsa_kernel
	.text
.Lfunc_end0:
	.size	fft_rtc_fwd_len224_factors_7_2_2_2_2_2_wgs_64_tpt_16_halfLds_sp_ip_CI_sbrr_dirReg, .Lfunc_end0-fft_rtc_fwd_len224_factors_7_2_2_2_2_2_wgs_64_tpt_16_halfLds_sp_ip_CI_sbrr_dirReg
                                        ; -- End function
	.section	.AMDGPU.csdata,"",@progbits
; Kernel info:
; codeLenInByte = 8788
; NumSgprs: 30
; NumVgprs: 80
; NumAgprs: 0
; TotalNumVgprs: 80
; ScratchSize: 0
; MemoryBound: 0
; FloatMode: 240
; IeeeMode: 1
; LDSByteSize: 0 bytes/workgroup (compile time only)
; SGPRBlocks: 3
; VGPRBlocks: 9
; NumSGPRsForWavesPerEU: 30
; NumVGPRsForWavesPerEU: 80
; AccumOffset: 80
; Occupancy: 6
; WaveLimiterHint : 1
; COMPUTE_PGM_RSRC2:SCRATCH_EN: 0
; COMPUTE_PGM_RSRC2:USER_SGPR: 2
; COMPUTE_PGM_RSRC2:TRAP_HANDLER: 0
; COMPUTE_PGM_RSRC2:TGID_X_EN: 1
; COMPUTE_PGM_RSRC2:TGID_Y_EN: 0
; COMPUTE_PGM_RSRC2:TGID_Z_EN: 0
; COMPUTE_PGM_RSRC2:TIDIG_COMP_CNT: 0
; COMPUTE_PGM_RSRC3_GFX90A:ACCUM_OFFSET: 19
; COMPUTE_PGM_RSRC3_GFX90A:TG_SPLIT: 0
	.text
	.p2alignl 6, 3212836864
	.fill 256, 4, 3212836864
	.type	__hip_cuid_697f79def94c8374,@object ; @__hip_cuid_697f79def94c8374
	.section	.bss,"aw",@nobits
	.globl	__hip_cuid_697f79def94c8374
__hip_cuid_697f79def94c8374:
	.byte	0                               ; 0x0
	.size	__hip_cuid_697f79def94c8374, 1

	.ident	"AMD clang version 19.0.0git (https://github.com/RadeonOpenCompute/llvm-project roc-6.4.0 25133 c7fe45cf4b819c5991fe208aaa96edf142730f1d)"
	.section	".note.GNU-stack","",@progbits
	.addrsig
	.addrsig_sym __hip_cuid_697f79def94c8374
	.amdgpu_metadata
---
amdhsa.kernels:
  - .agpr_count:     0
    .args:
      - .actual_access:  read_only
        .address_space:  global
        .offset:         0
        .size:           8
        .value_kind:     global_buffer
      - .offset:         8
        .size:           8
        .value_kind:     by_value
      - .actual_access:  read_only
        .address_space:  global
        .offset:         16
        .size:           8
        .value_kind:     global_buffer
      - .actual_access:  read_only
        .address_space:  global
        .offset:         24
        .size:           8
        .value_kind:     global_buffer
      - .offset:         32
        .size:           8
        .value_kind:     by_value
      - .actual_access:  read_only
        .address_space:  global
        .offset:         40
        .size:           8
        .value_kind:     global_buffer
      - .actual_access:  read_only
        .address_space:  global
        .offset:         48
        .size:           8
        .value_kind:     global_buffer
      - .offset:         56
        .size:           4
        .value_kind:     by_value
      - .actual_access:  read_only
        .address_space:  global
        .offset:         64
        .size:           8
        .value_kind:     global_buffer
      - .actual_access:  read_only
        .address_space:  global
        .offset:         72
        .size:           8
        .value_kind:     global_buffer
      - .address_space:  global
        .offset:         80
        .size:           8
        .value_kind:     global_buffer
    .group_segment_fixed_size: 0
    .kernarg_segment_align: 8
    .kernarg_segment_size: 88
    .language:       OpenCL C
    .language_version:
      - 2
      - 0
    .max_flat_workgroup_size: 64
    .name:           fft_rtc_fwd_len224_factors_7_2_2_2_2_2_wgs_64_tpt_16_halfLds_sp_ip_CI_sbrr_dirReg
    .private_segment_fixed_size: 0
    .sgpr_count:     30
    .sgpr_spill_count: 0
    .symbol:         fft_rtc_fwd_len224_factors_7_2_2_2_2_2_wgs_64_tpt_16_halfLds_sp_ip_CI_sbrr_dirReg.kd
    .uniform_work_group_size: 1
    .uses_dynamic_stack: false
    .vgpr_count:     80
    .vgpr_spill_count: 0
    .wavefront_size: 64
amdhsa.target:   amdgcn-amd-amdhsa--gfx950
amdhsa.version:
  - 1
  - 2
...

	.end_amdgpu_metadata
